;; amdgpu-corpus repo=zjin-lcf/HeCBench kind=compiled arch=gfx1030 opt=O3
	.amdgcn_target "amdgcn-amd-amdhsa--gfx1030"
	.amdhsa_code_object_version 6
	.text
	.protected	_Z9initTablePyy         ; -- Begin function _Z9initTablePyy
	.globl	_Z9initTablePyy
	.p2align	8
	.type	_Z9initTablePyy,@function
_Z9initTablePyy:                        ; @_Z9initTablePyy
; %bb.0:
	s_clause 0x1
	s_load_dword s7, s[4:5], 0x1c
	s_load_dwordx4 s[0:3], s[4:5], 0x0
	s_waitcnt lgkmcnt(0)
	s_and_b32 s4, s7, 0xffff
	v_mad_u64_u32 v[0:1], null, s6, s4, v[0:1]
	v_ashrrev_i32_e32 v1, 31, v0
	v_cmp_gt_u64_e32 vcc_lo, s[2:3], v[0:1]
	s_and_saveexec_b32 s2, vcc_lo
	s_cbranch_execz .LBB0_2
; %bb.1:
	v_lshlrev_b64 v[2:3], 3, v[0:1]
	v_add_co_u32 v2, vcc_lo, s0, v2
	v_add_co_ci_u32_e64 v3, null, s1, v3, vcc_lo
	global_store_dwordx2 v[2:3], v[0:1], off
.LBB0_2:
	s_endpgm
	.section	.rodata,"a",@progbits
	.p2align	6, 0x0
	.amdhsa_kernel _Z9initTablePyy
		.amdhsa_group_segment_fixed_size 0
		.amdhsa_private_segment_fixed_size 0
		.amdhsa_kernarg_size 272
		.amdhsa_user_sgpr_count 6
		.amdhsa_user_sgpr_private_segment_buffer 1
		.amdhsa_user_sgpr_dispatch_ptr 0
		.amdhsa_user_sgpr_queue_ptr 0
		.amdhsa_user_sgpr_kernarg_segment_ptr 1
		.amdhsa_user_sgpr_dispatch_id 0
		.amdhsa_user_sgpr_flat_scratch_init 0
		.amdhsa_user_sgpr_private_segment_size 0
		.amdhsa_wavefront_size32 1
		.amdhsa_uses_dynamic_stack 0
		.amdhsa_system_sgpr_private_segment_wavefront_offset 0
		.amdhsa_system_sgpr_workgroup_id_x 1
		.amdhsa_system_sgpr_workgroup_id_y 0
		.amdhsa_system_sgpr_workgroup_id_z 0
		.amdhsa_system_sgpr_workgroup_info 0
		.amdhsa_system_vgpr_workitem_id 0
		.amdhsa_next_free_vgpr 4
		.amdhsa_next_free_sgpr 8
		.amdhsa_reserve_vcc 1
		.amdhsa_reserve_flat_scratch 0
		.amdhsa_float_round_mode_32 0
		.amdhsa_float_round_mode_16_64 0
		.amdhsa_float_denorm_mode_32 3
		.amdhsa_float_denorm_mode_16_64 3
		.amdhsa_dx10_clamp 1
		.amdhsa_ieee_mode 1
		.amdhsa_fp16_overflow 0
		.amdhsa_workgroup_processor_mode 1
		.amdhsa_memory_ordered 1
		.amdhsa_forward_progress 1
		.amdhsa_shared_vgpr_count 0
		.amdhsa_exception_fp_ieee_invalid_op 0
		.amdhsa_exception_fp_denorm_src 0
		.amdhsa_exception_fp_ieee_div_zero 0
		.amdhsa_exception_fp_ieee_overflow 0
		.amdhsa_exception_fp_ieee_underflow 0
		.amdhsa_exception_fp_ieee_inexact 0
		.amdhsa_exception_int_div_zero 0
	.end_amdhsa_kernel
	.text
.Lfunc_end0:
	.size	_Z9initTablePyy, .Lfunc_end0-_Z9initTablePyy
                                        ; -- End function
	.set _Z9initTablePyy.num_vgpr, 4
	.set _Z9initTablePyy.num_agpr, 0
	.set _Z9initTablePyy.numbered_sgpr, 8
	.set _Z9initTablePyy.num_named_barrier, 0
	.set _Z9initTablePyy.private_seg_size, 0
	.set _Z9initTablePyy.uses_vcc, 1
	.set _Z9initTablePyy.uses_flat_scratch, 0
	.set _Z9initTablePyy.has_dyn_sized_stack, 0
	.set _Z9initTablePyy.has_recursion, 0
	.set _Z9initTablePyy.has_indirect_call, 0
	.section	.AMDGPU.csdata,"",@progbits
; Kernel info:
; codeLenInByte = 92
; TotalNumSgprs: 10
; NumVgprs: 4
; ScratchSize: 0
; MemoryBound: 0
; FloatMode: 240
; IeeeMode: 1
; LDSByteSize: 0 bytes/workgroup (compile time only)
; SGPRBlocks: 0
; VGPRBlocks: 0
; NumSGPRsForWavesPerEU: 10
; NumVGPRsForWavesPerEU: 4
; Occupancy: 16
; WaveLimiterHint : 0
; COMPUTE_PGM_RSRC2:SCRATCH_EN: 0
; COMPUTE_PGM_RSRC2:USER_SGPR: 6
; COMPUTE_PGM_RSRC2:TRAP_HANDLER: 0
; COMPUTE_PGM_RSRC2:TGID_X_EN: 1
; COMPUTE_PGM_RSRC2:TGID_Y_EN: 0
; COMPUTE_PGM_RSRC2:TGID_Z_EN: 0
; COMPUTE_PGM_RSRC2:TIDIG_COMP_CNT: 0
	.text
	.protected	_Z6updatePyy            ; -- Begin function _Z6updatePyy
	.globl	_Z6updatePyy
	.p2align	8
	.type	_Z6updatePyy,@function
_Z6updatePyy:                           ; @_Z6updatePyy
; %bb.0:
	s_load_dwordx4 s[8:11], s[4:5], 0x0
	v_mov_b32_e32 v5, 0
	s_mov_b32 s16, 0
	s_mov_b32 s5, exec_lo
	v_mov_b32_e32 v8, v5
	s_waitcnt lgkmcnt(0)
	s_lshr_b64 s[6:7], s[10:11], 5
	v_mad_u64_u32 v[1:2], null, s6, v0, 0
	s_and_b32 s7, s7, 0x1ffffff
	v_mad_u64_u32 v[3:4], null, s7, v0, v[2:3]
	v_mov_b32_e32 v2, v3
	v_ashrrev_i32_e32 v0, 31, v3
	v_cmp_lt_i64_e32 vcc_lo, 0, v[1:2]
	v_cndmask_b32_e32 v4, 0, v3, vcc_lo
	v_cndmask_b32_e32 v6, 0, v1, vcc_lo
	v_sub_co_u32 v7, vcc_lo, v0, v1
	v_sub_co_ci_u32_e64 v0, null, v0, v3, vcc_lo
	v_add_co_u32 v6, vcc_lo, v7, v6
	v_add_co_ci_u32_e64 v4, null, v0, v4, vcc_lo
	v_lshrrev_b32_e32 v0, 31, v3
	v_mad_u64_u32 v[6:7], null, 0x70000000, v6, v[4:5]
	v_mad_u64_u32 v[6:7], null, 0x70000000, v4, v[7:8]
	v_lshrrev_b32_e32 v3, 27, v7
	v_add_nc_u32_e32 v3, v3, v0
	v_mad_u64_u32 v[0:1], null, 0x49249249, v3, v[1:2]
	v_mad_u64_u32 v[2:3], null, 0x12492492, v3, v[1:2]
	v_add_co_u32 v3, vcc_lo, 0xb6db6db7, v0
	v_mov_b32_e32 v1, v2
	v_add_co_ci_u32_e64 v4, null, 0xedb6db6d, v2, vcc_lo
	v_cmp_gt_u64_e32 vcc_lo, v[3:4], v[0:1]
	v_cndmask_b32_e64 v3, v3, 0, vcc_lo
	v_cndmask_b32_e64 v1, v4, 0, vcc_lo
	v_add_co_u32 v3, vcc_lo, 0x49249248, v3
	v_add_co_ci_u32_e64 v4, null, 0x12492492, v1, vcc_lo
	v_mad_u64_u32 v[6:7], null, 0x70000000, v3, v[4:5]
	v_mov_b32_e32 v6, v5
	v_mov_b32_e32 v5, v7
	v_mad_u64_u32 v[5:6], null, 0x70000000, v4, v[5:6]
	v_lshrrev_b32_e32 v7, 27, v6
	v_mad_u64_u32 v[5:6], null, 0x49249249, v7, 0
	v_mov_b32_e32 v1, v6
	v_mad_u64_u32 v[6:7], null, 0x12492492, v7, v[1:2]
	v_sub_co_u32 v1, vcc_lo, v3, v5
	v_sub_co_ci_u32_e64 v5, null, v4, v6, vcc_lo
	v_sub_co_u32 v1, vcc_lo, v1, v3
	v_sub_co_ci_u32_e64 v3, null, v5, v4, vcc_lo
	v_add_co_u32 v0, vcc_lo, v1, v0
	v_add_co_ci_u32_e64 v1, null, v3, v2, vcc_lo
	v_mov_b32_e32 v2, 1
	v_mov_b32_e32 v3, 0
	v_cmpx_ne_u64_e32 0, v[0:1]
	s_cbranch_execz .LBB1_18
; %bb.1:
	v_mov_b32_e32 v2, v0
	v_mov_b32_e32 v3, v1
	;; [unrolled: 1-line block ×6, first 2 shown]
	s_mov_b32 s17, 59
	s_mov_b32 s18, 60
	;; [unrolled: 1-line block ×4, first 2 shown]
	s_mov_b32 s21, -4
                                        ; implicit-def: $sgpr22
                                        ; implicit-def: $sgpr12
                                        ; implicit-def: $sgpr13
                                        ; implicit-def: $sgpr14
                                        ; implicit-def: $sgpr15
.LBB1_2:                                ; =>This Inner Loop Header: Depth=1
	s_lshl_b64 s[24:25], 1, s19
	s_lshl_b64 s[0:1], 1, s18
	v_and_b32_e32 v12, s25, v3
	v_and_b32_e32 v11, s24, v2
	s_lshl_b64 s[2:3], 1, s17
	s_lshl_b64 s[26:27], 1, s20
	v_and_b32_e32 v14, s3, v7
	v_and_b32_e32 v10, s27, v1
	;; [unrolled: 1-line block ×6, first 2 shown]
	v_cmp_ne_u64_e64 s0, 0, v[11:12]
	v_cmp_ne_u64_e64 s2, 0, v[9:10]
	;; [unrolled: 1-line block ×3, first 2 shown]
	s_cmp_eq_u32 s21, 52
	v_cmp_ne_u64_e32 vcc_lo, 0, v[15:16]
	s_cselect_b32 s23, -1, 0
	v_cndmask_b32_e64 v11, 0, 1, s0
	v_cndmask_b32_e64 v9, 0, 1, s2
	;; [unrolled: 1-line block ×3, first 2 shown]
	s_add_i32 s20, s20, -4
	v_cndmask_b32_e64 v15, 0, 1, vcc_lo
	v_lshlrev_b16 v10, 1, v11
	s_add_i32 s19, s19, -4
	v_lshlrev_b16 v12, 3, v12
	s_add_i32 s18, s18, -4
	v_lshlrev_b16 v11, 2, v15
	v_or_b32_e32 v9, v9, v10
	s_add_i32 s21, s21, 4
	s_add_i32 s17, s17, -4
	v_mov_b32_e32 v8, s21
	v_or_b32_e32 v10, v12, v11
	v_and_b32_e32 v9, 3, v9
	v_or_b32_e32 v9, v9, v10
	v_and_b32_e32 v9, 15, v9
	v_cmp_ne_u16_e64 s3, 0, v9
	v_cmp_eq_u16_e64 s4, 0, v9
	s_or_b32 s3, s3, s23
	s_and_b32 s3, exec_lo, s3
	s_or_b32 s16, s3, s16
	s_andn2_b32 s3, s15, exec_lo
	s_and_b32 s2, s2, exec_lo
	s_andn2_b32 s14, s14, exec_lo
	s_and_b32 s0, s0, exec_lo
	s_andn2_b32 s13, s13, exec_lo
	s_and_b32 s23, vcc_lo, exec_lo
	s_andn2_b32 s12, s12, exec_lo
	s_and_b32 s1, s1, exec_lo
	s_andn2_b32 s22, s22, exec_lo
	s_and_b32 s4, s4, exec_lo
	s_or_b32 s15, s3, s2
	s_or_b32 s14, s14, s0
	;; [unrolled: 1-line block ×5, first 2 shown]
	s_andn2_b32 exec_lo, exec_lo, s16
	s_cbranch_execnz .LBB1_2
; %bb.3:
	s_or_b32 exec_lo, exec_lo, s16
                                        ; implicit-def: $vgpr5
	s_and_saveexec_b32 s0, s22
	s_xor_b32 s0, exec_lo, s0
	s_cbranch_execz .LBB1_9
; %bb.4:
	v_and_b32_e32 v2, 4, v0
	v_mov_b32_e32 v3, 0
	v_mov_b32_e32 v5, 2
	s_mov_b32 s1, exec_lo
	v_cmpx_eq_u64_e32 0, v[2:3]
	s_cbranch_execz .LBB1_8
; %bb.5:
	v_and_b32_e32 v2, 2, v0
	v_mov_b32_e32 v5, 1
	s_mov_b32 s2, exec_lo
	v_cmpx_eq_u64_e32 0, v[2:3]
; %bb.6:
	v_and_b32_e32 v2, 1, v0
	v_mov_b32_e32 v3, 0
	v_cmp_eq_u64_e32 vcc_lo, 0, v[2:3]
	v_cndmask_b32_e64 v5, 0, -1, vcc_lo
; %bb.7:
	s_or_b32 exec_lo, exec_lo, s2
.LBB1_8:
	s_or_b32 exec_lo, exec_lo, s1
.LBB1_9:
	s_andn2_saveexec_b32 s0, s0
	s_cbranch_execz .LBB1_11
; %bb.10:
	v_cndmask_b32_e64 v2, 0, -1, s14
	v_cndmask_b32_e64 v3, 0, -1, s15
	;; [unrolled: 1-line block ×3, first 2 shown]
	v_cndmask_b32_e64 v5, 0, 1, s12
	v_and_b32_e32 v2, 3, v2
	v_and_b32_e32 v3, 4, v3
	;; [unrolled: 1-line block ×3, first 2 shown]
	v_max_u16 v2, v2, v5
	v_max3_u16 v2, v3, v4, v2
	v_sub_nc_u16 v2, 4, v2
	v_add_nc_u32_sdwa v2, v8, v2 dst_sel:DWORD dst_unused:UNUSED_PAD src0_sel:DWORD src1_sel:BYTE_0
	v_sub_nc_u32_e32 v5, 62, v2
.LBB1_11:
	s_or_b32 exec_lo, exec_lo, s0
	v_mov_b32_e32 v2, 2
	v_mov_b32_e32 v3, 0
	s_mov_b32 s2, 0
	s_mov_b32 s1, exec_lo
	v_cmpx_lt_i32_e32 0, v5
	s_cbranch_execz .LBB1_17
; %bb.12:
	v_mov_b32_e32 v4, 0
	v_mov_b32_e32 v2, 2
	v_add_nc_u32_e32 v6, 1, v5
	v_add_nc_u32_e32 v7, -1, v5
	v_mov_b32_e32 v3, 0
	v_mov_b32_e32 v8, v4
	s_branch .LBB1_14
.LBB1_13:                               ;   in Loop: Header=BB1_14 Depth=1
	s_or_b32 exec_lo, exec_lo, s0
	v_add_nc_u32_e32 v6, -1, v6
	v_add_co_u32 v7, s0, v7, -1
	v_add_co_ci_u32_e64 v8, null, -1, v8, s0
	v_cmp_gt_u32_e32 vcc_lo, 2, v6
	s_or_b32 s2, vcc_lo, s2
	s_andn2_b32 exec_lo, exec_lo, s2
	s_cbranch_execz .LBB1_16
.LBB1_14:                               ; =>This Inner Loop Header: Depth=1
	v_lshlrev_b32_e32 v9, 6, v2
	v_lshlrev_b32_e32 v10, 7, v2
	;; [unrolled: 1-line block ×5, first 2 shown]
	v_and_b32_e32 v9, 0x1000, v9
	v_and_b32_e32 v10, 0x4000, v10
	;; [unrolled: 1-line block ×5, first 2 shown]
	v_lshlrev_b32_e32 v14, 11, v2
	v_lshlrev_b32_e32 v15, 12, v2
	v_or3_b32 v9, v10, v9, v11
	v_lshlrev_b32_e32 v10, 13, v2
	v_lshlrev_b32_e32 v5, 1, v2
	v_and_b32_e32 v11, 0x400000, v14
	v_and_b32_e32 v14, 0x1000000, v15
	v_or3_b32 v9, v9, v12, v13
	v_and_b32_e32 v10, 0x4000000, v10
	v_lshlrev_b32_e32 v12, 14, v2
	v_lshlrev_b32_e32 v13, 15, v2
	v_and_b32_e32 v5, 4, v5
	v_or3_b32 v9, v9, v11, v14
	v_lshlrev_b32_e32 v11, 2, v2
	v_lshlrev_b32_e32 v14, 3, v2
	v_and_b32_e32 v12, 0x10000000, v12
	v_and_b32_e32 v13, 2.0, v13
	v_xor_b32_e32 v9, v9, v10
	v_and_or_b32 v5, v2, 1, v5
	v_and_b32_e32 v10, 16, v11
	v_and_b32_e32 v11, 64, v14
	v_lshlrev_b32_e32 v14, 4, v2
	v_lshlrev_b32_e32 v15, 5, v2
	v_xor3_b32 v9, v9, v12, v13
	v_lshlrev_b64 v[19:20], 21, v[2:3]
	v_or3_b32 v5, v5, v10, v11
	v_and_b32_e32 v10, 0x100, v14
	v_and_b32_e32 v11, 0x400, v15
	v_or3_b32 v9, v9, 0, 0
	v_lshlrev_b64 v[13:14], 18, v[2:3]
	v_lshlrev_b64 v[15:16], 19, v[2:3]
	;; [unrolled: 1-line block ×3, first 2 shown]
	v_or3_b32 v5, v5, v10, v11
	v_or3_b32 v9, v9, 0, 0
	v_lshlrev_b64 v[11:12], 17, v[2:3]
	v_and_b32_e32 v13, 16, v14
	v_and_b32_e32 v15, 0x400, v20
	s_mov_b32 s0, exec_lo
	v_xor_b32_e32 v9, v9, v5
	v_and_b32_e32 v5, 1, v3
	v_and_b32_e32 v12, 4, v12
	v_xor_b32_e32 v10, 7, v9
	v_cmp_eq_u64_e32 vcc_lo, 0, v[4:5]
	v_and_b32_e32 v5, 2, v3
	v_cndmask_b32_e32 v9, v10, v9, vcc_lo
	v_cmp_eq_u64_e32 vcc_lo, 0, v[4:5]
	v_and_b32_e32 v5, 4, v3
	v_xor_b32_e32 v10, 28, v9
	v_cndmask_b32_e32 v9, v10, v9, vcc_lo
	v_cmp_eq_u64_e32 vcc_lo, 0, v[4:5]
	v_and_b32_e32 v5, 8, v3
	v_xor_b32_e32 v10, 0x70, v9
	;; [unrolled: 4-line block ×6, first 2 shown]
	v_cndmask_b32_e32 v17, v10, v9, vcc_lo
	v_lshlrev_b64 v[9:10], 16, v[2:3]
	v_cmp_eq_u64_e32 vcc_lo, 0, v[4:5]
	v_and_b32_e32 v5, 0x100, v3
	v_xor_b32_e32 v9, 0x1c000, v17
	v_and_b32_e32 v10, 1, v10
	v_cndmask_b32_e32 v9, v9, v17, vcc_lo
	v_cmp_eq_u64_e32 vcc_lo, 0, v[4:5]
	v_lshlrev_b64 v[17:18], 20, v[2:3]
	v_and_b32_e32 v5, 0x200, v3
	v_or_b32_e32 v10, v10, v12
	v_xor_b32_e32 v11, 0x70000, v9
	v_and_b32_e32 v12, 0x100, v18
	v_cndmask_b32_e32 v11, v11, v9, vcc_lo
	v_and_b32_e32 v9, 64, v16
	v_cmp_eq_u64_e32 vcc_lo, 0, v[4:5]
	v_and_b32_e32 v5, 0x400, v3
	v_xor_b32_e32 v14, 0x1c0000, v11
	v_or3_b32 v13, v10, v13, v9
	v_lshlrev_b64 v[9:10], 23, v[2:3]
	v_and_b32_e32 v9, 0x1000, v22
	v_cndmask_b32_e32 v14, v14, v11, vcc_lo
	v_or3_b32 v13, v13, v12, v15
	v_lshlrev_b64 v[11:12], 24, v[2:3]
	v_cmp_eq_u64_e32 vcc_lo, 0, v[4:5]
	v_and_b32_e32 v15, 0x4000, v10
	v_xor_b32_e32 v11, 0x700000, v14
	v_xor_b32_e32 v13, v13, v9
	v_lshlrev_b64 v[9:10], 25, v[2:3]
	v_and_b32_e32 v5, 0x800, v3
	v_and_b32_e32 v9, 0x10000, v12
	v_cndmask_b32_e32 v14, v11, v14, vcc_lo
	v_xor_b32_e32 v13, v13, v15
	v_lshlrev_b64 v[11:12], 26, v[2:3]
	v_cmp_eq_u64_e32 vcc_lo, 0, v[4:5]
	v_and_b32_e32 v15, 0x40000, v10
	v_xor_b32_e32 v11, 0x1c00000, v14
	v_xor_b32_e32 v13, v13, v9
	v_lshlrev_b64 v[9:10], 27, v[2:3]
	v_and_b32_e32 v5, 0x1000, v3
	v_and_b32_e32 v9, 0x100000, v12
	v_cndmask_b32_e32 v14, v11, v14, vcc_lo
	v_xor_b32_e32 v13, v13, v15
	;; [unrolled: 10-line block ×3, first 2 shown]
	v_lshlrev_b64 v[11:12], 30, v[2:3]
	v_cmp_eq_u64_e32 vcc_lo, 0, v[4:5]
	v_and_b32_e32 v15, 0x4000000, v10
	v_xor_b32_e32 v11, 0x1c000000, v14
	v_xor_b32_e32 v13, v13, v9
	v_lshlrev_b64 v[9:10], 31, v[2:3]
	v_and_b32_e32 v5, 0x4000, v3
	v_cndmask_b32_e32 v9, v11, v14, vcc_lo
	v_and_b32_e32 v11, 0x10000000, v12
	v_xor_b32_e32 v12, v13, v15
	v_cmp_eq_u64_e32 vcc_lo, 0, v[4:5]
	v_and_b32_e32 v10, 2.0, v10
	v_xor_b32_e32 v13, 0x70000000, v9
	v_and_b32_e32 v5, 0x8000, v3
	v_xor_b32_e32 v11, v12, v11
	v_cndmask_b32_e32 v9, v13, v9, vcc_lo
	v_cmp_eq_u64_e32 vcc_lo, 0, v[4:5]
	v_xor_b32_e32 v10, v11, v10
	v_xor_b32_e32 v11, -2.0, v9
	v_xor_b32_e32 v5, 1, v10
	v_cndmask_b32_e32 v11, v11, v9, vcc_lo
	v_cndmask_b32_e32 v9, v5, v10, vcc_lo
	v_and_b32_e32 v5, 0x10000, v3
	v_xor_b32_e32 v10, 7, v9
	v_cmp_eq_u64_e32 vcc_lo, 0, v[4:5]
	v_and_b32_e32 v5, 0x20000, v3
	v_cndmask_b32_e32 v9, v10, v9, vcc_lo
	v_cmp_eq_u64_e32 vcc_lo, 0, v[4:5]
	v_and_b32_e32 v5, 0x40000, v3
	v_xor_b32_e32 v10, 28, v9
	v_cndmask_b32_e32 v9, v10, v9, vcc_lo
	v_cmp_eq_u64_e32 vcc_lo, 0, v[4:5]
	v_and_b32_e32 v5, 0x80000, v3
	v_xor_b32_e32 v10, 0x70, v9
	;; [unrolled: 4-line block ×12, first 2 shown]
	v_cndmask_b32_e32 v9, v10, v9, vcc_lo
	v_cmp_eq_u64_e32 vcc_lo, 0, v[4:5]
	v_and_b32_e32 v5, 2.0, v3
	v_xor_b32_e32 v10, 0x1c000000, v9
	v_cndmask_b32_e32 v9, v10, v9, vcc_lo
	v_cmp_eq_u64_e32 vcc_lo, 0, v[4:5]
	v_xor_b32_e32 v10, 0x70000000, v9
	v_cndmask_b32_e32 v5, v10, v9, vcc_lo
	v_lshrrev_b64 v[9:10], v7, v[0:1]
	v_cmp_gt_i64_e32 vcc_lo, 0, v[2:3]
	v_xor_b32_e32 v2, 7, v11
	v_xor_b32_e32 v10, -2.0, v5
	v_and_b32_e32 v9, 1, v9
	v_cndmask_b32_e32 v2, v11, v2, vcc_lo
	v_cndmask_b32_e32 v3, v5, v10, vcc_lo
	v_cmpx_eq_u32_e32 1, v9
	s_cbranch_execz .LBB1_13
; %bb.15:                               ;   in Loop: Header=BB1_14 Depth=1
	v_ashrrev_i32_e32 v5, 31, v3
	v_lshlrev_b64 v[2:3], 1, v[2:3]
	v_and_b32_e32 v5, 7, v5
	v_xor_b32_e32 v2, v5, v2
	s_branch .LBB1_13
.LBB1_16:
	s_or_b32 exec_lo, exec_lo, s2
.LBB1_17:
	s_or_b32 exec_lo, exec_lo, s1
.LBB1_18:
	s_or_b32 exec_lo, exec_lo, s5
	s_cmp_eq_u64 s[6:7], 0
	s_cbranch_scc1 .LBB1_21
; %bb.19:
	s_add_u32 s0, s10, -1
	s_addc_u32 s1, s11, -1
	.p2align	6
.LBB1_20:                               ; =>This Inner Loop Header: Depth=1
	v_ashrrev_i32_e32 v0, 31, v3
	v_lshlrev_b64 v[2:3], 1, v[2:3]
	s_add_u32 s6, s6, -1
	s_addc_u32 s7, s7, -1
	s_cmp_eq_u64 s[6:7], 0
	v_and_b32_e32 v0, 7, v0
	v_and_b32_e32 v1, s1, v3
	v_xor_b32_e32 v2, v0, v2
	v_and_b32_e32 v0, s0, v2
	v_lshlrev_b64 v[0:1], 3, v[0:1]
	v_add_co_u32 v0, vcc_lo, s8, v0
	v_add_co_ci_u32_e64 v1, null, s9, v1, vcc_lo
	global_atomic_xor_x2 v[0:1], v[2:3], off
	s_cbranch_scc0 .LBB1_20
.LBB1_21:
	s_endpgm
	.section	.rodata,"a",@progbits
	.p2align	6, 0x0
	.amdhsa_kernel _Z6updatePyy
		.amdhsa_group_segment_fixed_size 0
		.amdhsa_private_segment_fixed_size 0
		.amdhsa_kernarg_size 16
		.amdhsa_user_sgpr_count 6
		.amdhsa_user_sgpr_private_segment_buffer 1
		.amdhsa_user_sgpr_dispatch_ptr 0
		.amdhsa_user_sgpr_queue_ptr 0
		.amdhsa_user_sgpr_kernarg_segment_ptr 1
		.amdhsa_user_sgpr_dispatch_id 0
		.amdhsa_user_sgpr_flat_scratch_init 0
		.amdhsa_user_sgpr_private_segment_size 0
		.amdhsa_wavefront_size32 1
		.amdhsa_uses_dynamic_stack 0
		.amdhsa_system_sgpr_private_segment_wavefront_offset 0
		.amdhsa_system_sgpr_workgroup_id_x 1
		.amdhsa_system_sgpr_workgroup_id_y 0
		.amdhsa_system_sgpr_workgroup_id_z 0
		.amdhsa_system_sgpr_workgroup_info 0
		.amdhsa_system_vgpr_workitem_id 0
		.amdhsa_next_free_vgpr 23
		.amdhsa_next_free_sgpr 28
		.amdhsa_reserve_vcc 1
		.amdhsa_reserve_flat_scratch 0
		.amdhsa_float_round_mode_32 0
		.amdhsa_float_round_mode_16_64 0
		.amdhsa_float_denorm_mode_32 3
		.amdhsa_float_denorm_mode_16_64 3
		.amdhsa_dx10_clamp 1
		.amdhsa_ieee_mode 1
		.amdhsa_fp16_overflow 0
		.amdhsa_workgroup_processor_mode 1
		.amdhsa_memory_ordered 1
		.amdhsa_forward_progress 1
		.amdhsa_shared_vgpr_count 0
		.amdhsa_exception_fp_ieee_invalid_op 0
		.amdhsa_exception_fp_denorm_src 0
		.amdhsa_exception_fp_ieee_div_zero 0
		.amdhsa_exception_fp_ieee_overflow 0
		.amdhsa_exception_fp_ieee_underflow 0
		.amdhsa_exception_fp_ieee_inexact 0
		.amdhsa_exception_int_div_zero 0
	.end_amdhsa_kernel
	.text
.Lfunc_end1:
	.size	_Z6updatePyy, .Lfunc_end1-_Z6updatePyy
                                        ; -- End function
	.set _Z6updatePyy.num_vgpr, 23
	.set _Z6updatePyy.num_agpr, 0
	.set _Z6updatePyy.numbered_sgpr, 28
	.set _Z6updatePyy.num_named_barrier, 0
	.set _Z6updatePyy.private_seg_size, 0
	.set _Z6updatePyy.uses_vcc, 1
	.set _Z6updatePyy.uses_flat_scratch, 0
	.set _Z6updatePyy.has_dyn_sized_stack, 0
	.set _Z6updatePyy.has_recursion, 0
	.set _Z6updatePyy.has_indirect_call, 0
	.section	.AMDGPU.csdata,"",@progbits
; Kernel info:
; codeLenInByte = 2384
; TotalNumSgprs: 30
; NumVgprs: 23
; ScratchSize: 0
; MemoryBound: 0
; FloatMode: 240
; IeeeMode: 1
; LDSByteSize: 0 bytes/workgroup (compile time only)
; SGPRBlocks: 0
; VGPRBlocks: 2
; NumSGPRsForWavesPerEU: 30
; NumVGPRsForWavesPerEU: 23
; Occupancy: 16
; WaveLimiterHint : 0
; COMPUTE_PGM_RSRC2:SCRATCH_EN: 0
; COMPUTE_PGM_RSRC2:USER_SGPR: 6
; COMPUTE_PGM_RSRC2:TRAP_HANDLER: 0
; COMPUTE_PGM_RSRC2:TGID_X_EN: 1
; COMPUTE_PGM_RSRC2:TGID_Y_EN: 0
; COMPUTE_PGM_RSRC2:TGID_Z_EN: 0
; COMPUTE_PGM_RSRC2:TIDIG_COMP_CNT: 0
	.text
	.p2alignl 6, 3214868480
	.fill 48, 4, 3214868480
	.section	.AMDGPU.gpr_maximums,"",@progbits
	.set amdgpu.max_num_vgpr, 0
	.set amdgpu.max_num_agpr, 0
	.set amdgpu.max_num_sgpr, 0
	.text
	.type	__hip_cuid_13f07a665b27019b,@object ; @__hip_cuid_13f07a665b27019b
	.section	.bss,"aw",@nobits
	.globl	__hip_cuid_13f07a665b27019b
__hip_cuid_13f07a665b27019b:
	.byte	0                               ; 0x0
	.size	__hip_cuid_13f07a665b27019b, 1

	.ident	"AMD clang version 22.0.0git (https://github.com/RadeonOpenCompute/llvm-project roc-7.2.4 26084 f58b06dce1f9c15707c5f808fd002e18c2accf7e)"
	.section	".note.GNU-stack","",@progbits
	.addrsig
	.addrsig_sym __hip_cuid_13f07a665b27019b
	.amdgpu_metadata
---
amdhsa.kernels:
  - .args:
      - .address_space:  global
        .offset:         0
        .size:           8
        .value_kind:     global_buffer
      - .offset:         8
        .size:           8
        .value_kind:     by_value
      - .offset:         16
        .size:           4
        .value_kind:     hidden_block_count_x
      - .offset:         20
        .size:           4
        .value_kind:     hidden_block_count_y
      - .offset:         24
        .size:           4
        .value_kind:     hidden_block_count_z
      - .offset:         28
        .size:           2
        .value_kind:     hidden_group_size_x
      - .offset:         30
        .size:           2
        .value_kind:     hidden_group_size_y
      - .offset:         32
        .size:           2
        .value_kind:     hidden_group_size_z
      - .offset:         34
        .size:           2
        .value_kind:     hidden_remainder_x
      - .offset:         36
        .size:           2
        .value_kind:     hidden_remainder_y
      - .offset:         38
        .size:           2
        .value_kind:     hidden_remainder_z
      - .offset:         56
        .size:           8
        .value_kind:     hidden_global_offset_x
      - .offset:         64
        .size:           8
        .value_kind:     hidden_global_offset_y
      - .offset:         72
        .size:           8
        .value_kind:     hidden_global_offset_z
      - .offset:         80
        .size:           2
        .value_kind:     hidden_grid_dims
    .group_segment_fixed_size: 0
    .kernarg_segment_align: 8
    .kernarg_segment_size: 272
    .language:       OpenCL C
    .language_version:
      - 2
      - 0
    .max_flat_workgroup_size: 1024
    .name:           _Z9initTablePyy
    .private_segment_fixed_size: 0
    .sgpr_count:     10
    .sgpr_spill_count: 0
    .symbol:         _Z9initTablePyy.kd
    .uniform_work_group_size: 1
    .uses_dynamic_stack: false
    .vgpr_count:     4
    .vgpr_spill_count: 0
    .wavefront_size: 32
    .workgroup_processor_mode: 1
  - .args:
      - .address_space:  global
        .offset:         0
        .size:           8
        .value_kind:     global_buffer
      - .offset:         8
        .size:           8
        .value_kind:     by_value
    .group_segment_fixed_size: 0
    .kernarg_segment_align: 8
    .kernarg_segment_size: 16
    .language:       OpenCL C
    .language_version:
      - 2
      - 0
    .max_flat_workgroup_size: 1024
    .name:           _Z6updatePyy
    .private_segment_fixed_size: 0
    .sgpr_count:     30
    .sgpr_spill_count: 0
    .symbol:         _Z6updatePyy.kd
    .uniform_work_group_size: 1
    .uses_dynamic_stack: false
    .vgpr_count:     23
    .vgpr_spill_count: 0
    .wavefront_size: 32
    .workgroup_processor_mode: 1
amdhsa.target:   amdgcn-amd-amdhsa--gfx1030
amdhsa.version:
  - 1
  - 2
...

	.end_amdgpu_metadata
